;; amdgpu-corpus repo=ROCm/rocFFT kind=compiled arch=gfx906 opt=O3
	.text
	.amdgcn_target "amdgcn-amd-amdhsa--gfx906"
	.amdhsa_code_object_version 6
	.protected	fft_rtc_back_len1750_factors_2_5_5_7_5_wgs_175_tpt_175_halfLds_sp_ip_CI_unitstride_sbrr_C2R_dirReg ; -- Begin function fft_rtc_back_len1750_factors_2_5_5_7_5_wgs_175_tpt_175_halfLds_sp_ip_CI_unitstride_sbrr_C2R_dirReg
	.globl	fft_rtc_back_len1750_factors_2_5_5_7_5_wgs_175_tpt_175_halfLds_sp_ip_CI_unitstride_sbrr_C2R_dirReg
	.p2align	8
	.type	fft_rtc_back_len1750_factors_2_5_5_7_5_wgs_175_tpt_175_halfLds_sp_ip_CI_unitstride_sbrr_C2R_dirReg,@function
fft_rtc_back_len1750_factors_2_5_5_7_5_wgs_175_tpt_175_halfLds_sp_ip_CI_unitstride_sbrr_C2R_dirReg: ; @fft_rtc_back_len1750_factors_2_5_5_7_5_wgs_175_tpt_175_halfLds_sp_ip_CI_unitstride_sbrr_C2R_dirReg
; %bb.0:
	s_load_dwordx2 s[2:3], s[4:5], 0x50
	s_load_dwordx4 s[8:11], s[4:5], 0x0
	s_load_dwordx2 s[12:13], s[4:5], 0x18
	v_mul_u32_u24_e32 v1, 0x177, v0
	v_add_u32_sdwa v5, s6, v1 dst_sel:DWORD dst_unused:UNUSED_PAD src0_sel:DWORD src1_sel:WORD_1
	v_mov_b32_e32 v3, 0
	s_waitcnt lgkmcnt(0)
	v_cmp_lt_u64_e64 s[0:1], s[10:11], 2
	v_mov_b32_e32 v1, 0
	v_mov_b32_e32 v6, v3
	s_and_b64 vcc, exec, s[0:1]
	v_mov_b32_e32 v2, 0
	s_cbranch_vccnz .LBB0_8
; %bb.1:
	s_load_dwordx2 s[0:1], s[4:5], 0x10
	s_add_u32 s6, s12, 8
	s_addc_u32 s7, s13, 0
	v_mov_b32_e32 v1, 0
	v_mov_b32_e32 v2, 0
	s_waitcnt lgkmcnt(0)
	s_add_u32 s14, s0, 8
	s_addc_u32 s15, s1, 0
	s_mov_b64 s[16:17], 1
.LBB0_2:                                ; =>This Inner Loop Header: Depth=1
	s_load_dwordx2 s[18:19], s[14:15], 0x0
                                        ; implicit-def: $vgpr7_vgpr8
	s_waitcnt lgkmcnt(0)
	v_or_b32_e32 v4, s19, v6
	v_cmp_ne_u64_e32 vcc, 0, v[3:4]
	s_and_saveexec_b64 s[0:1], vcc
	s_xor_b64 s[20:21], exec, s[0:1]
	s_cbranch_execz .LBB0_4
; %bb.3:                                ;   in Loop: Header=BB0_2 Depth=1
	v_cvt_f32_u32_e32 v4, s18
	v_cvt_f32_u32_e32 v7, s19
	s_sub_u32 s0, 0, s18
	s_subb_u32 s1, 0, s19
	v_mac_f32_e32 v4, 0x4f800000, v7
	v_rcp_f32_e32 v4, v4
	v_mul_f32_e32 v4, 0x5f7ffffc, v4
	v_mul_f32_e32 v7, 0x2f800000, v4
	v_trunc_f32_e32 v7, v7
	v_mac_f32_e32 v4, 0xcf800000, v7
	v_cvt_u32_f32_e32 v7, v7
	v_cvt_u32_f32_e32 v4, v4
	v_mul_lo_u32 v8, s0, v7
	v_mul_hi_u32 v9, s0, v4
	v_mul_lo_u32 v11, s1, v4
	v_mul_lo_u32 v10, s0, v4
	v_add_u32_e32 v8, v9, v8
	v_add_u32_e32 v8, v8, v11
	v_mul_hi_u32 v9, v4, v10
	v_mul_lo_u32 v11, v4, v8
	v_mul_hi_u32 v13, v4, v8
	v_mul_hi_u32 v12, v7, v10
	v_mul_lo_u32 v10, v7, v10
	v_mul_hi_u32 v14, v7, v8
	v_add_co_u32_e32 v9, vcc, v9, v11
	v_addc_co_u32_e32 v11, vcc, 0, v13, vcc
	v_mul_lo_u32 v8, v7, v8
	v_add_co_u32_e32 v9, vcc, v9, v10
	v_addc_co_u32_e32 v9, vcc, v11, v12, vcc
	v_addc_co_u32_e32 v10, vcc, 0, v14, vcc
	v_add_co_u32_e32 v8, vcc, v9, v8
	v_addc_co_u32_e32 v9, vcc, 0, v10, vcc
	v_add_co_u32_e32 v4, vcc, v4, v8
	v_addc_co_u32_e32 v7, vcc, v7, v9, vcc
	v_mul_lo_u32 v8, s0, v7
	v_mul_hi_u32 v9, s0, v4
	v_mul_lo_u32 v10, s1, v4
	v_mul_lo_u32 v11, s0, v4
	v_add_u32_e32 v8, v9, v8
	v_add_u32_e32 v8, v8, v10
	v_mul_lo_u32 v12, v4, v8
	v_mul_hi_u32 v13, v4, v11
	v_mul_hi_u32 v14, v4, v8
	;; [unrolled: 1-line block ×3, first 2 shown]
	v_mul_lo_u32 v11, v7, v11
	v_mul_hi_u32 v9, v7, v8
	v_add_co_u32_e32 v12, vcc, v13, v12
	v_addc_co_u32_e32 v13, vcc, 0, v14, vcc
	v_mul_lo_u32 v8, v7, v8
	v_add_co_u32_e32 v11, vcc, v12, v11
	v_addc_co_u32_e32 v10, vcc, v13, v10, vcc
	v_addc_co_u32_e32 v9, vcc, 0, v9, vcc
	v_add_co_u32_e32 v8, vcc, v10, v8
	v_addc_co_u32_e32 v9, vcc, 0, v9, vcc
	v_add_co_u32_e32 v4, vcc, v4, v8
	v_addc_co_u32_e32 v9, vcc, v7, v9, vcc
	v_mad_u64_u32 v[7:8], s[0:1], v5, v9, 0
	v_mul_hi_u32 v10, v5, v4
	v_add_co_u32_e32 v11, vcc, v10, v7
	v_addc_co_u32_e32 v12, vcc, 0, v8, vcc
	v_mad_u64_u32 v[7:8], s[0:1], v6, v4, 0
	v_mad_u64_u32 v[9:10], s[0:1], v6, v9, 0
	v_add_co_u32_e32 v4, vcc, v11, v7
	v_addc_co_u32_e32 v4, vcc, v12, v8, vcc
	v_addc_co_u32_e32 v7, vcc, 0, v10, vcc
	v_add_co_u32_e32 v4, vcc, v4, v9
	v_addc_co_u32_e32 v9, vcc, 0, v7, vcc
	v_mul_lo_u32 v10, s19, v4
	v_mul_lo_u32 v11, s18, v9
	v_mad_u64_u32 v[7:8], s[0:1], s18, v4, 0
	v_add3_u32 v8, v8, v11, v10
	v_sub_u32_e32 v10, v6, v8
	v_mov_b32_e32 v11, s19
	v_sub_co_u32_e32 v7, vcc, v5, v7
	v_subb_co_u32_e64 v10, s[0:1], v10, v11, vcc
	v_subrev_co_u32_e64 v11, s[0:1], s18, v7
	v_subbrev_co_u32_e64 v10, s[0:1], 0, v10, s[0:1]
	v_cmp_le_u32_e64 s[0:1], s19, v10
	v_cndmask_b32_e64 v12, 0, -1, s[0:1]
	v_cmp_le_u32_e64 s[0:1], s18, v11
	v_cndmask_b32_e64 v11, 0, -1, s[0:1]
	v_cmp_eq_u32_e64 s[0:1], s19, v10
	v_cndmask_b32_e64 v10, v12, v11, s[0:1]
	v_add_co_u32_e64 v11, s[0:1], 2, v4
	v_addc_co_u32_e64 v12, s[0:1], 0, v9, s[0:1]
	v_add_co_u32_e64 v13, s[0:1], 1, v4
	v_addc_co_u32_e64 v14, s[0:1], 0, v9, s[0:1]
	v_subb_co_u32_e32 v8, vcc, v6, v8, vcc
	v_cmp_ne_u32_e64 s[0:1], 0, v10
	v_cmp_le_u32_e32 vcc, s19, v8
	v_cndmask_b32_e64 v10, v14, v12, s[0:1]
	v_cndmask_b32_e64 v12, 0, -1, vcc
	v_cmp_le_u32_e32 vcc, s18, v7
	v_cndmask_b32_e64 v7, 0, -1, vcc
	v_cmp_eq_u32_e32 vcc, s19, v8
	v_cndmask_b32_e32 v7, v12, v7, vcc
	v_cmp_ne_u32_e32 vcc, 0, v7
	v_cndmask_b32_e64 v7, v13, v11, s[0:1]
	v_cndmask_b32_e32 v8, v9, v10, vcc
	v_cndmask_b32_e32 v7, v4, v7, vcc
.LBB0_4:                                ;   in Loop: Header=BB0_2 Depth=1
	s_andn2_saveexec_b64 s[0:1], s[20:21]
	s_cbranch_execz .LBB0_6
; %bb.5:                                ;   in Loop: Header=BB0_2 Depth=1
	v_cvt_f32_u32_e32 v4, s18
	s_sub_i32 s20, 0, s18
	v_rcp_iflag_f32_e32 v4, v4
	v_mul_f32_e32 v4, 0x4f7ffffe, v4
	v_cvt_u32_f32_e32 v4, v4
	v_mul_lo_u32 v7, s20, v4
	v_mul_hi_u32 v7, v4, v7
	v_add_u32_e32 v4, v4, v7
	v_mul_hi_u32 v4, v5, v4
	v_mul_lo_u32 v7, v4, s18
	v_add_u32_e32 v8, 1, v4
	v_sub_u32_e32 v7, v5, v7
	v_subrev_u32_e32 v9, s18, v7
	v_cmp_le_u32_e32 vcc, s18, v7
	v_cndmask_b32_e32 v7, v7, v9, vcc
	v_cndmask_b32_e32 v4, v4, v8, vcc
	v_add_u32_e32 v8, 1, v4
	v_cmp_le_u32_e32 vcc, s18, v7
	v_cndmask_b32_e32 v7, v4, v8, vcc
	v_mov_b32_e32 v8, v3
.LBB0_6:                                ;   in Loop: Header=BB0_2 Depth=1
	s_or_b64 exec, exec, s[0:1]
	v_mul_lo_u32 v4, v8, s18
	v_mul_lo_u32 v11, v7, s19
	v_mad_u64_u32 v[9:10], s[0:1], v7, s18, 0
	s_load_dwordx2 s[0:1], s[6:7], 0x0
	s_add_u32 s16, s16, 1
	v_add3_u32 v4, v10, v11, v4
	v_sub_co_u32_e32 v5, vcc, v5, v9
	v_subb_co_u32_e32 v4, vcc, v6, v4, vcc
	s_waitcnt lgkmcnt(0)
	v_mul_lo_u32 v4, s0, v4
	v_mul_lo_u32 v6, s1, v5
	v_mad_u64_u32 v[1:2], s[0:1], s0, v5, v[1:2]
	s_addc_u32 s17, s17, 0
	s_add_u32 s6, s6, 8
	v_add3_u32 v2, v6, v2, v4
	v_mov_b32_e32 v4, s10
	v_mov_b32_e32 v5, s11
	s_addc_u32 s7, s7, 0
	v_cmp_ge_u64_e32 vcc, s[16:17], v[4:5]
	s_add_u32 s14, s14, 8
	s_addc_u32 s15, s15, 0
	s_cbranch_vccnz .LBB0_9
; %bb.7:                                ;   in Loop: Header=BB0_2 Depth=1
	v_mov_b32_e32 v5, v7
	v_mov_b32_e32 v6, v8
	s_branch .LBB0_2
.LBB0_8:
	v_mov_b32_e32 v8, v6
	v_mov_b32_e32 v7, v5
.LBB0_9:
	s_lshl_b64 s[0:1], s[10:11], 3
	s_add_u32 s0, s12, s0
	s_addc_u32 s1, s13, s1
	s_load_dwordx2 s[6:7], s[0:1], 0x0
	s_load_dwordx2 s[10:11], s[4:5], 0x20
	s_waitcnt lgkmcnt(0)
	v_mad_u64_u32 v[1:2], s[0:1], s6, v7, v[1:2]
	v_mul_lo_u32 v3, s6, v8
	v_mul_lo_u32 v4, s7, v7
	s_mov_b32 s0, 0x1767dcf
	v_mul_hi_u32 v5, v0, s0
	v_cmp_gt_u64_e64 s[0:1], s[10:11], v[7:8]
	v_add3_u32 v2, v4, v2, v3
	v_lshlrev_b64 v[26:27], 3, v[1:2]
	v_mul_u32_u24_e32 v3, 0xaf, v5
	v_sub_u32_e32 v24, v0, v3
	s_and_saveexec_b64 s[4:5], s[0:1]
	s_cbranch_execz .LBB0_13
; %bb.10:
	v_mov_b32_e32 v25, 0
	v_mov_b32_e32 v0, s3
	v_add_co_u32_e32 v1, vcc, s2, v26
	v_lshlrev_b64 v[2:3], 3, v[24:25]
	v_addc_co_u32_e32 v0, vcc, v0, v27, vcc
	v_add_co_u32_e32 v2, vcc, v1, v2
	v_addc_co_u32_e32 v3, vcc, v0, v3, vcc
	s_movk_i32 s6, 0x1000
	v_add_co_u32_e32 v4, vcc, s6, v2
	v_addc_co_u32_e32 v5, vcc, 0, v3, vcc
	s_movk_i32 s6, 0x2000
	v_add_co_u32_e32 v8, vcc, s6, v2
	v_addc_co_u32_e32 v9, vcc, 0, v3, vcc
	global_load_dwordx2 v[6:7], v[4:5], off offset:104
	global_load_dwordx2 v[10:11], v[4:5], off offset:1504
	;; [unrolled: 1-line block ×5, first 2 shown]
	v_add_co_u32_e32 v4, vcc, 0x3000, v2
	v_addc_co_u32_e32 v5, vcc, 0, v3, vcc
	global_load_dwordx2 v[18:19], v[2:3], off offset:2800
	global_load_dwordx2 v[20:21], v[2:3], off
	global_load_dwordx2 v[22:23], v[2:3], off offset:1400
	global_load_dwordx2 v[28:29], v[8:9], off offset:3008
	;; [unrolled: 1-line block ×3, first 2 shown]
	v_lshl_add_u32 v2, v24, 3, 0
	s_movk_i32 s6, 0xae
	v_add_u32_e32 v3, 0xa00, v2
	v_cmp_eq_u32_e32 vcc, s6, v24
	v_add_u32_e32 v4, 0x1400, v2
	v_add_u32_e32 v5, 0x2000, v2
	;; [unrolled: 1-line block ×3, first 2 shown]
	s_waitcnt vmcnt(4)
	ds_write2_b64 v3, v[18:19], v[6:7] offset0:30 offset1:205
	ds_write2_b64 v4, v[10:11], v[12:13] offset0:60 offset1:235
	s_waitcnt vmcnt(2)
	ds_write2_b64 v2, v[20:21], v[22:23] offset1:175
	ds_write2_b64 v5, v[14:15], v[16:17] offset0:26 offset1:201
	s_waitcnt vmcnt(0)
	ds_write2_b64 v8, v[28:29], v[30:31] offset0:56 offset1:231
	s_and_saveexec_b64 s[6:7], vcc
	s_cbranch_execz .LBB0_12
; %bb.11:
	v_add_co_u32_e32 v1, vcc, 0x3000, v1
	v_addc_co_u32_e32 v2, vcc, 0, v0, vcc
	global_load_dwordx2 v[0:1], v[1:2], off offset:1712
	v_mov_b32_e32 v24, 0xae
	s_waitcnt vmcnt(0)
	ds_write_b64 v25, v[0:1] offset:14000
.LBB0_12:
	s_or_b64 exec, exec, s[6:7]
.LBB0_13:
	s_or_b64 exec, exec, s[4:5]
	v_lshlrev_b32_e32 v0, 3, v24
	v_add_u32_e32 v32, 0, v0
	s_waitcnt lgkmcnt(0)
	s_barrier
	v_sub_u32_e32 v5, 0, v0
	ds_read_b32 v4, v32
	ds_read_b32 v6, v5 offset:14000
	s_add_u32 s6, s8, 0x36a0
	s_addc_u32 s7, s9, 0
	v_cmp_ne_u32_e32 vcc, 0, v24
                                        ; implicit-def: $vgpr2_vgpr3
	s_waitcnt lgkmcnt(0)
	v_add_f32_e32 v0, v6, v4
	v_sub_f32_e32 v1, v4, v6
	s_and_saveexec_b64 s[4:5], vcc
	s_xor_b64 s[4:5], exec, s[4:5]
	s_cbranch_execz .LBB0_15
; %bb.14:
	v_mov_b32_e32 v25, 0
	v_lshlrev_b64 v[0:1], 3, v[24:25]
	v_mov_b32_e32 v2, s7
	v_add_co_u32_e32 v0, vcc, s6, v0
	v_addc_co_u32_e32 v1, vcc, v2, v1, vcc
	global_load_dwordx2 v[2:3], v[0:1], off
	ds_read_b32 v0, v5 offset:14004
	ds_read_b32 v1, v32 offset:4
	v_add_f32_e32 v7, v6, v4
	v_sub_f32_e32 v4, v4, v6
	s_waitcnt lgkmcnt(0)
	v_add_f32_e32 v8, v0, v1
	v_sub_f32_e32 v0, v1, v0
	s_waitcnt vmcnt(0)
	v_fma_f32 v9, v4, v3, v7
	v_fma_f32 v1, v8, v3, v0
	v_fma_f32 v6, -v4, v3, v7
	v_fma_f32 v7, v8, v3, -v0
	v_fma_f32 v0, -v2, v8, v9
	v_fmac_f32_e32 v1, v4, v2
	v_fmac_f32_e32 v6, v2, v8
	v_fmac_f32_e32 v7, v4, v2
	v_mov_b32_e32 v2, v24
	ds_write_b64 v5, v[6:7] offset:14000
	v_mov_b32_e32 v3, v25
.LBB0_15:
	s_andn2_saveexec_b64 s[4:5], s[4:5]
	s_cbranch_execz .LBB0_17
; %bb.16:
	v_mov_b32_e32 v4, 0
	ds_read_b64 v[2:3], v4 offset:7000
	s_waitcnt lgkmcnt(0)
	v_add_f32_e32 v6, v2, v2
	v_mul_f32_e32 v7, -2.0, v3
	v_mov_b32_e32 v2, 0
	v_mov_b32_e32 v3, 0
	ds_write_b64 v4, v[6:7] offset:7000
.LBB0_17:
	s_or_b64 exec, exec, s[4:5]
	v_lshlrev_b64 v[2:3], 3, v[2:3]
	v_mov_b32_e32 v4, s7
	v_add_co_u32_e32 v2, vcc, s6, v2
	v_addc_co_u32_e32 v3, vcc, v4, v3, vcc
	global_load_dwordx2 v[6:7], v[2:3], off offset:1400
	global_load_dwordx2 v[8:9], v[2:3], off offset:2800
	s_movk_i32 s4, 0x1000
	v_add_co_u32_e32 v2, vcc, s4, v2
	v_addc_co_u32_e32 v3, vcc, 0, v3, vcc
	global_load_dwordx2 v[10:11], v[2:3], off offset:104
	global_load_dwordx2 v[12:13], v[2:3], off offset:1504
	ds_write_b64 v32, v[0:1]
	ds_read_b64 v[0:1], v32 offset:1400
	ds_read_b64 v[2:3], v5 offset:12600
	v_add_u32_e32 v25, 0xaf, v24
	v_lshl_add_u32 v23, v25, 4, 0
	s_movk_i32 s4, 0xcd
	s_waitcnt lgkmcnt(0)
	v_add_f32_e32 v4, v0, v2
	v_add_f32_e32 v14, v3, v1
	v_sub_f32_e32 v15, v0, v2
	v_sub_f32_e32 v0, v1, v3
	s_waitcnt vmcnt(3)
	v_fma_f32 v16, v15, v7, v4
	v_fma_f32 v1, v14, v7, v0
	v_fma_f32 v2, -v15, v7, v4
	v_fma_f32 v3, v14, v7, -v0
	v_fma_f32 v0, -v6, v14, v16
	v_fmac_f32_e32 v1, v15, v6
	v_fmac_f32_e32 v2, v6, v14
	;; [unrolled: 1-line block ×3, first 2 shown]
	ds_write_b64 v32, v[0:1] offset:1400
	ds_write_b64 v5, v[2:3] offset:12600
	ds_read_b64 v[0:1], v32 offset:2800
	ds_read_b64 v[2:3], v5 offset:11200
	s_waitcnt lgkmcnt(0)
	v_add_f32_e32 v4, v0, v2
	v_add_f32_e32 v6, v3, v1
	v_sub_f32_e32 v7, v0, v2
	v_sub_f32_e32 v0, v1, v3
	s_waitcnt vmcnt(2)
	v_fma_f32 v14, v7, v9, v4
	v_fma_f32 v1, v6, v9, v0
	v_fma_f32 v2, -v7, v9, v4
	v_fma_f32 v3, v6, v9, -v0
	v_fma_f32 v0, -v8, v6, v14
	v_fmac_f32_e32 v1, v7, v8
	v_fmac_f32_e32 v2, v8, v6
	;; [unrolled: 1-line block ×3, first 2 shown]
	ds_write_b64 v32, v[0:1] offset:2800
	ds_write_b64 v5, v[2:3] offset:11200
	ds_read_b64 v[6:7], v32 offset:4200
	ds_read_b64 v[8:9], v5 offset:9800
	v_add_u32_e32 v4, 0x1400, v32
	v_add_u32_e32 v0, 0x2000, v32
	;; [unrolled: 1-line block ×4, first 2 shown]
	s_waitcnt lgkmcnt(0)
	v_add_f32_e32 v3, v6, v8
	v_add_f32_e32 v14, v9, v7
	v_sub_f32_e32 v15, v6, v8
	v_sub_f32_e32 v6, v7, v9
	s_waitcnt vmcnt(1)
	v_fma_f32 v16, v15, v11, v3
	v_fma_f32 v7, v14, v11, v6
	v_fma_f32 v8, -v15, v11, v3
	v_fma_f32 v9, v14, v11, -v6
	v_fma_f32 v6, -v10, v14, v16
	v_fmac_f32_e32 v7, v15, v10
	v_fmac_f32_e32 v8, v10, v14
	;; [unrolled: 1-line block ×3, first 2 shown]
	ds_write_b64 v32, v[6:7] offset:4200
	ds_write_b64 v5, v[8:9] offset:9800
	ds_read_b64 v[6:7], v32 offset:5600
	ds_read_b64 v[8:9], v5 offset:8400
	v_lshl_add_u32 v3, v24, 4, 0
	v_add_u32_e32 v33, 0x15e0, v3
	v_add_u32_e32 v3, 0x2bc0, v3
	s_waitcnt lgkmcnt(0)
	v_add_f32_e32 v10, v6, v8
	v_add_f32_e32 v11, v9, v7
	v_sub_f32_e32 v14, v6, v8
	v_sub_f32_e32 v6, v7, v9
	s_waitcnt vmcnt(0)
	v_fma_f32 v15, v14, v13, v10
	v_fma_f32 v7, v11, v13, v6
	v_fma_f32 v8, -v14, v13, v10
	v_fma_f32 v9, v11, v13, -v6
	v_fma_f32 v6, -v12, v11, v15
	v_fmac_f32_e32 v7, v14, v12
	v_fmac_f32_e32 v8, v12, v11
	;; [unrolled: 1-line block ×3, first 2 shown]
	ds_write_b64 v32, v[6:7] offset:5600
	ds_write_b64 v5, v[8:9] offset:8400
	s_waitcnt lgkmcnt(0)
	s_barrier
	s_barrier
	ds_read2_b64 v[5:8], v32 offset1:175
	ds_read2_b64 v[9:12], v4 offset0:60 offset1:235
	ds_read2_b64 v[13:16], v0 offset0:26 offset1:201
	;; [unrolled: 1-line block ×4, first 2 shown]
	s_waitcnt lgkmcnt(0)
	s_barrier
	v_sub_f32_e32 v13, v7, v13
	v_sub_f32_e32 v14, v8, v14
	;; [unrolled: 1-line block ×4, first 2 shown]
	v_fma_f32 v7, v7, 2.0, -v13
	v_fma_f32 v8, v8, 2.0, -v14
	v_sub_f32_e32 v11, v5, v11
	v_sub_f32_e32 v12, v6, v12
	v_fma_f32 v17, v17, 2.0, -v15
	v_fma_f32 v18, v18, 2.0, -v16
	ds_write2_b64 v23, v[7:8], v[13:14] offset1:1
	ds_write2_b64 v33, v[17:18], v[15:16] offset1:1
	v_sub_f32_e32 v7, v9, v30
	v_sub_f32_e32 v8, v10, v31
	;; [unrolled: 1-line block ×4, first 2 shown]
	v_fma_f32 v5, v5, 2.0, -v11
	v_fma_f32 v6, v6, 2.0, -v12
	;; [unrolled: 1-line block ×4, first 2 shown]
	v_lshl_add_u32 v13, v24, 3, v32
	v_fma_f32 v19, v19, 2.0, -v21
	v_fma_f32 v20, v20, 2.0, -v22
	ds_write2_b64 v13, v[5:6], v[11:12] offset1:1
	v_add_u32_e32 v5, 0x20d0, v13
	ds_write2_b64 v3, v[9:10], v[7:8] offset1:1
	v_and_b32_e32 v3, 1, v24
	ds_write2_b64 v5, v[19:20], v[21:22] offset1:1
	v_lshlrev_b32_e32 v21, 5, v3
	v_and_b32_e32 v22, 1, v25
	s_waitcnt lgkmcnt(0)
	s_barrier
	global_load_dwordx4 v[5:8], v21, s[8:9]
	v_lshlrev_b32_e32 v23, 5, v22
	global_load_dwordx4 v[9:12], v23, s[8:9]
	global_load_dwordx4 v[13:16], v21, s[8:9] offset:16
	global_load_dwordx4 v[17:20], v23, s[8:9] offset:16
	ds_read2_b64 v[28:31], v2 offset0:30 offset1:205
	ds_read2_b64 v[33:36], v4 offset0:60 offset1:235
	;; [unrolled: 1-line block ×4, first 2 shown]
	ds_read2_b64 v[45:48], v32 offset1:175
	v_lshrrev_b32_e32 v21, 1, v24
	v_mul_u32_u24_e32 v21, 10, v21
	v_or_b32_e32 v3, v21, v3
	v_lshl_add_u32 v3, v3, 3, 0
	s_waitcnt vmcnt(0) lgkmcnt(0)
	s_barrier
	v_mul_f32_e32 v21, v6, v29
	v_mul_f32_e32 v6, v6, v28
	;; [unrolled: 1-line block ×12, first 2 shown]
	v_fmac_f32_e32 v21, v5, v28
	v_fma_f32 v28, v5, v29, -v6
	v_fmac_f32_e32 v23, v7, v33
	v_fma_f32 v29, v7, v34, -v8
	v_mul_f32_e32 v5, v43, v20
	v_fmac_f32_e32 v50, v35, v11
	v_fma_f32 v11, v36, v11, -v12
	v_fmac_f32_e32 v51, v13, v37
	v_fma_f32 v12, v13, v38, -v14
	v_fmac_f32_e32 v52, v15, v41
	v_mul_f32_e32 v49, v10, v31
	v_mul_f32_e32 v10, v10, v30
	v_fma_f32 v13, v15, v42, -v16
	v_fmac_f32_e32 v53, v39, v17
	v_fma_f32 v14, v40, v17, -v18
	v_fma_f32 v15, v44, v19, -v5
	v_sub_f32_e32 v5, v21, v23
	v_sub_f32_e32 v6, v52, v51
	v_add_f32_e32 v7, v23, v51
	v_add_f32_e32 v8, v29, v12
	;; [unrolled: 1-line block ×4, first 2 shown]
	v_mul_f32_e32 v33, v44, v20
	v_fmac_f32_e32 v49, v9, v30
	v_fma_f32 v20, v9, v31, -v10
	v_sub_f32_e32 v9, v28, v29
	v_sub_f32_e32 v10, v13, v12
	v_add_f32_e32 v31, v5, v6
	v_fma_f32 v5, -0.5, v7, v45
	v_fma_f32 v6, -0.5, v8, v46
	v_add_f32_e32 v7, v16, v23
	v_add_f32_e32 v8, v17, v29
	v_sub_f32_e32 v18, v28, v13
	v_sub_f32_e32 v30, v21, v52
	v_add_f32_e32 v34, v9, v10
	v_add_f32_e32 v9, v7, v51
	;; [unrolled: 1-line block ×3, first 2 shown]
	v_mov_b32_e32 v7, v5
	v_mov_b32_e32 v8, v6
	v_fmac_f32_e32 v33, v43, v19
	v_sub_f32_e32 v19, v29, v12
	v_fmac_f32_e32 v7, 0xbf737871, v18
	v_fmac_f32_e32 v8, 0x3f737871, v30
	v_sub_f32_e32 v16, v23, v51
	v_fmac_f32_e32 v7, 0xbf167918, v19
	v_fmac_f32_e32 v8, 0x3f167918, v16
	v_add_f32_e32 v9, v9, v52
	v_add_f32_e32 v10, v10, v13
	v_fmac_f32_e32 v7, 0x3e9e377a, v31
	v_fmac_f32_e32 v8, 0x3e9e377a, v34
	ds_write2_b64 v3, v[9:10], v[7:8] offset1:2
	v_sub_f32_e32 v7, v23, v21
	v_add_f32_e32 v8, v21, v52
	v_sub_f32_e32 v9, v51, v52
	v_add_f32_e32 v10, v7, v9
	v_fma_f32 v7, -0.5, v8, v45
	v_mov_b32_e32 v9, v7
	v_fmac_f32_e32 v9, 0x3f737871, v19
	v_fmac_f32_e32 v7, 0xbf737871, v19
	;; [unrolled: 1-line block ×4, first 2 shown]
	v_add_f32_e32 v8, v28, v13
	v_fmac_f32_e32 v9, 0x3e9e377a, v10
	v_fmac_f32_e32 v7, 0x3e9e377a, v10
	v_fma_f32 v8, -0.5, v8, v46
	v_sub_f32_e32 v10, v29, v28
	v_sub_f32_e32 v12, v12, v13
	v_add_f32_e32 v12, v10, v12
	v_mov_b32_e32 v10, v8
	v_fmac_f32_e32 v10, 0xbf737871, v16
	v_fmac_f32_e32 v8, 0x3f737871, v16
	;; [unrolled: 1-line block ×8, first 2 shown]
	ds_write2_b64 v3, v[9:10], v[7:8] offset0:4 offset1:6
	v_fmac_f32_e32 v5, 0x3f167918, v19
	v_fmac_f32_e32 v6, 0xbf167918, v16
	v_sub_f32_e32 v9, v20, v11
	v_sub_f32_e32 v10, v15, v14
	v_fmac_f32_e32 v5, 0x3e9e377a, v31
	v_fmac_f32_e32 v6, 0x3e9e377a, v34
	v_add_f32_e32 v7, v50, v53
	v_add_f32_e32 v8, v11, v14
	;; [unrolled: 1-line block ×3, first 2 shown]
	v_lshrrev_b32_e32 v9, 1, v25
	ds_write_b64 v3, v[5:6] offset:64
	v_sub_f32_e32 v3, v49, v50
	v_sub_f32_e32 v5, v33, v53
	v_fma_f32 v7, -0.5, v7, v47
	v_fma_f32 v8, -0.5, v8, v48
	v_mul_u32_u24_e32 v9, 10, v9
	v_add_f32_e32 v3, v3, v5
	v_add_f32_e32 v5, v47, v49
	;; [unrolled: 1-line block ×3, first 2 shown]
	v_or_b32_e32 v13, v9, v22
	v_sub_f32_e32 v16, v20, v15
	v_mov_b32_e32 v9, v7
	v_mov_b32_e32 v10, v8
	v_sub_f32_e32 v18, v49, v33
	v_add_f32_e32 v5, v5, v50
	v_add_f32_e32 v6, v6, v11
	v_fmac_f32_e32 v9, 0xbf737871, v16
	v_sub_f32_e32 v17, v11, v14
	v_fmac_f32_e32 v10, 0x3f737871, v18
	v_sub_f32_e32 v19, v50, v53
	v_fmac_f32_e32 v7, 0x3f737871, v16
	v_add_f32_e32 v5, v5, v53
	v_add_f32_e32 v6, v6, v14
	v_fmac_f32_e32 v9, 0xbf167918, v17
	v_fmac_f32_e32 v10, 0x3f167918, v19
	;; [unrolled: 1-line block ×3, first 2 shown]
	v_add_f32_e32 v5, v5, v33
	v_add_f32_e32 v6, v6, v15
	v_fmac_f32_e32 v9, 0x3e9e377a, v3
	v_fmac_f32_e32 v10, 0x3e9e377a, v12
	v_lshl_add_u32 v13, v13, 3, 0
	v_fmac_f32_e32 v7, 0x3e9e377a, v3
	v_add_f32_e32 v3, v49, v33
	ds_write2_b64 v13, v[5:6], v[9:10] offset1:2
	v_fma_f32 v47, -0.5, v3, v47
	v_sub_f32_e32 v3, v50, v49
	v_sub_f32_e32 v5, v53, v33
	v_add_f32_e32 v3, v3, v5
	v_mov_b32_e32 v5, v47
	v_fmac_f32_e32 v5, 0x3f737871, v17
	v_fmac_f32_e32 v47, 0xbf737871, v17
	;; [unrolled: 1-line block ×6, first 2 shown]
	v_add_f32_e32 v3, v20, v15
	v_fmac_f32_e32 v48, -0.5, v3
	v_sub_f32_e32 v3, v11, v20
	v_sub_f32_e32 v6, v14, v15
	v_add_f32_e32 v3, v3, v6
	v_mov_b32_e32 v6, v48
	v_fmac_f32_e32 v6, 0xbf737871, v19
	v_fmac_f32_e32 v48, 0x3f737871, v19
	;; [unrolled: 1-line block ×6, first 2 shown]
	v_mul_lo_u16_sdwa v3, v24, s4 dst_sel:DWORD dst_unused:UNUSED_PAD src0_sel:BYTE_0 src1_sel:DWORD
	v_lshrrev_b16_e32 v21, 11, v3
	v_fmac_f32_e32 v8, 0xbf737871, v18
	v_mul_lo_u16_e32 v3, 10, v21
	v_fmac_f32_e32 v8, 0xbf167918, v19
	v_sub_u16_e32 v22, v24, v3
	v_mov_b32_e32 v3, 5
	s_mov_b32 s4, 0xcccd
	v_fmac_f32_e32 v8, 0x3e9e377a, v12
	v_lshlrev_b32_sdwa v3, v3, v22 dst_sel:DWORD dst_unused:UNUSED_PAD src0_sel:DWORD src1_sel:BYTE_0
	v_mul_u32_u24_sdwa v9, v25, s4 dst_sel:DWORD dst_unused:UNUSED_PAD src0_sel:WORD_0 src1_sel:DWORD
	ds_write2_b64 v13, v[5:6], v[47:48] offset0:4 offset1:6
	ds_write_b64 v13, v[7:8] offset:64
	s_waitcnt lgkmcnt(0)
	s_barrier
	global_load_dwordx4 v[5:8], v3, s[8:9] offset:64
	v_lshrrev_b32_e32 v23, 19, v9
	v_mul_lo_u16_e32 v9, 10, v23
	v_sub_u16_e32 v37, v25, v9
	v_lshlrev_b32_e32 v28, 5, v37
	global_load_dwordx4 v[9:12], v28, s[8:9] offset:64
	global_load_dwordx4 v[13:16], v3, s[8:9] offset:80
	;; [unrolled: 1-line block ×3, first 2 shown]
	ds_read2_b64 v[28:31], v2 offset0:30 offset1:205
	ds_read2_b64 v[33:36], v4 offset0:60 offset1:235
	s_movk_i32 s4, 0x4b
	v_cmp_gt_u32_e32 vcc, s4, v24
	s_waitcnt vmcnt(3) lgkmcnt(1)
	v_mul_f32_e32 v38, v6, v29
	v_mul_f32_e32 v2, v6, v28
	v_fmac_f32_e32 v38, v5, v28
	v_fma_f32 v28, v5, v29, -v2
	s_waitcnt lgkmcnt(0)
	v_mul_f32_e32 v2, v8, v33
	v_mul_f32_e32 v29, v8, v34
	v_fma_f32 v34, v7, v34, -v2
	s_waitcnt vmcnt(2)
	v_mul_f32_e32 v39, v10, v31
	v_mul_f32_e32 v2, v10, v30
	v_fmac_f32_e32 v29, v7, v33
	v_fmac_f32_e32 v39, v9, v30
	v_fma_f32 v30, v9, v31, -v2
	v_mul_f32_e32 v31, v36, v12
	ds_read2_b64 v[5:8], v0 offset0:26 offset1:201
	v_mul_f32_e32 v0, v35, v12
	v_fmac_f32_e32 v31, v35, v11
	v_fma_f32 v35, v36, v11, -v0
	ds_read2_b64 v[9:12], v1 offset0:56 offset1:231
	s_waitcnt vmcnt(1) lgkmcnt(1)
	v_mul_f32_e32 v36, v14, v6
	v_mul_f32_e32 v0, v14, v5
	v_fmac_f32_e32 v36, v13, v5
	v_fma_f32 v13, v13, v6, -v0
	s_waitcnt lgkmcnt(0)
	v_mul_f32_e32 v14, v16, v10
	v_mul_f32_e32 v0, v16, v9
	v_fmac_f32_e32 v14, v15, v9
	v_fma_f32 v15, v15, v10, -v0
	s_waitcnt vmcnt(0)
	v_mul_f32_e32 v16, v8, v18
	v_mul_f32_e32 v0, v7, v18
	v_fmac_f32_e32 v16, v7, v17
	v_fma_f32 v17, v8, v17, -v0
	ds_read2_b64 v[0:3], v32 offset1:175
	v_mul_f32_e32 v18, v12, v20
	v_mul_f32_e32 v5, v11, v20
	v_add_f32_e32 v7, v29, v36
	v_add_f32_e32 v8, v34, v13
	v_sub_f32_e32 v9, v28, v34
	v_sub_f32_e32 v10, v15, v13
	v_mov_b32_e32 v33, 3
	v_fmac_f32_e32 v18, v11, v19
	v_fma_f32 v11, v12, v19, -v5
	v_sub_f32_e32 v5, v38, v29
	v_sub_f32_e32 v6, v14, v36
	s_waitcnt lgkmcnt(0)
	v_fma_f32 v7, -0.5, v7, v0
	v_fma_f32 v8, -0.5, v8, v1
	v_add_f32_e32 v19, v9, v10
	v_mul_u32_u24_e32 v9, 0x190, v21
	v_lshlrev_b32_sdwa v10, v33, v22 dst_sel:DWORD dst_unused:UNUSED_PAD src0_sel:DWORD src1_sel:BYTE_0
	v_add_f32_e32 v12, v5, v6
	v_add_f32_e32 v5, v0, v38
	;; [unrolled: 1-line block ×3, first 2 shown]
	v_add3_u32 v20, 0, v9, v10
	v_sub_f32_e32 v21, v28, v15
	v_mov_b32_e32 v9, v7
	v_mov_b32_e32 v10, v8
	v_sub_f32_e32 v40, v38, v14
	v_add_f32_e32 v5, v5, v29
	v_add_f32_e32 v6, v6, v34
	v_fmac_f32_e32 v9, 0xbf737871, v21
	v_sub_f32_e32 v22, v34, v13
	v_fmac_f32_e32 v10, 0x3f737871, v40
	v_sub_f32_e32 v41, v29, v36
	v_add_f32_e32 v5, v5, v36
	v_add_f32_e32 v6, v6, v13
	v_fmac_f32_e32 v9, 0xbf167918, v22
	v_fmac_f32_e32 v10, 0x3f167918, v41
	v_add_f32_e32 v5, v5, v14
	v_add_f32_e32 v6, v6, v15
	v_fmac_f32_e32 v9, 0x3e9e377a, v12
	v_fmac_f32_e32 v10, 0x3e9e377a, v19
	s_barrier
	ds_write2_b64 v20, v[5:6], v[9:10] offset1:10
	v_add_f32_e32 v6, v38, v14
	v_sub_f32_e32 v5, v29, v38
	v_sub_f32_e32 v9, v36, v14
	v_fma_f32 v0, -0.5, v6, v0
	v_add_f32_e32 v9, v5, v9
	v_mov_b32_e32 v5, v0
	v_fmac_f32_e32 v5, 0x3f737871, v22
	v_fmac_f32_e32 v0, 0xbf737871, v22
	;; [unrolled: 1-line block ×4, first 2 shown]
	v_add_f32_e32 v6, v28, v15
	v_fmac_f32_e32 v5, 0x3e9e377a, v9
	v_fmac_f32_e32 v0, 0x3e9e377a, v9
	v_fma_f32 v1, -0.5, v6, v1
	v_sub_f32_e32 v6, v34, v28
	v_sub_f32_e32 v9, v13, v15
	v_add_f32_e32 v9, v6, v9
	v_mov_b32_e32 v6, v1
	v_fmac_f32_e32 v6, 0xbf737871, v41
	v_fmac_f32_e32 v1, 0x3f737871, v41
	;; [unrolled: 1-line block ×6, first 2 shown]
	ds_write2_b64 v20, v[5:6], v[0:1] offset0:20 offset1:30
	v_sub_f32_e32 v0, v39, v31
	v_sub_f32_e32 v1, v18, v16
	v_add_f32_e32 v0, v0, v1
	v_add_f32_e32 v1, v31, v16
	v_fma_f32 v28, -0.5, v1, v2
	v_sub_f32_e32 v1, v30, v11
	v_mov_b32_e32 v5, v28
	v_fmac_f32_e32 v7, 0x3f737871, v21
	v_fmac_f32_e32 v8, 0xbf737871, v40
	;; [unrolled: 1-line block ×3, first 2 shown]
	v_sub_f32_e32 v6, v35, v17
	v_fmac_f32_e32 v28, 0x3f737871, v1
	v_fmac_f32_e32 v7, 0x3f167918, v22
	;; [unrolled: 1-line block ×9, first 2 shown]
	v_add_f32_e32 v0, v39, v18
	ds_write_b64 v20, v[7:8] offset:320
	v_add_f32_e32 v7, v2, v39
	v_fma_f32 v2, -0.5, v0, v2
	v_sub_f32_e32 v0, v31, v39
	v_sub_f32_e32 v8, v16, v18
	v_add_f32_e32 v8, v0, v8
	v_mov_b32_e32 v0, v2
	v_fmac_f32_e32 v0, 0x3f737871, v6
	v_fmac_f32_e32 v2, 0xbf737871, v6
	;; [unrolled: 1-line block ×4, first 2 shown]
	v_add_f32_e32 v1, v7, v31
	v_add_f32_e32 v6, v3, v30
	;; [unrolled: 1-line block ×7, first 2 shown]
	v_fmac_f32_e32 v0, 0x3e9e377a, v8
	v_fmac_f32_e32 v2, 0x3e9e377a, v8
	v_add_f32_e32 v8, v6, v11
	v_fma_f32 v29, -0.5, v1, v3
	v_sub_f32_e32 v1, v30, v35
	v_sub_f32_e32 v6, v11, v17
	;; [unrolled: 1-line block ×3, first 2 shown]
	v_add_f32_e32 v1, v1, v6
	v_mov_b32_e32 v6, v29
	v_sub_f32_e32 v10, v31, v16
	v_fmac_f32_e32 v6, 0x3f737871, v9
	v_fmac_f32_e32 v29, 0xbf737871, v9
	;; [unrolled: 1-line block ×6, first 2 shown]
	v_add_f32_e32 v1, v30, v11
	v_fmac_f32_e32 v3, -0.5, v1
	v_sub_f32_e32 v1, v35, v30
	v_sub_f32_e32 v11, v17, v11
	v_add_f32_e32 v11, v1, v11
	v_mov_b32_e32 v1, v3
	v_fmac_f32_e32 v1, 0xbf737871, v10
	v_fmac_f32_e32 v3, 0x3f737871, v10
	;; [unrolled: 1-line block ×4, first 2 shown]
	v_mul_u32_u24_e32 v9, 0x190, v23
	v_lshlrev_b32_e32 v10, 3, v37
	v_add3_u32 v9, 0, v9, v10
	v_fmac_f32_e32 v1, 0x3e9e377a, v11
	v_fmac_f32_e32 v3, 0x3e9e377a, v11
	ds_write2_b64 v9, v[7:8], v[5:6] offset1:10
	ds_write2_b64 v9, v[0:1], v[2:3] offset0:20 offset1:30
	ds_write_b64 v9, v[28:29] offset:320
	v_add_u32_e32 v5, 0xf80, v32
	s_waitcnt lgkmcnt(0)
	s_barrier
	ds_read2_b64 v[16:19], v5 offset0:4 offset1:254
	v_add_u32_e32 v5, 0x1f40, v32
	ds_read2_b64 v[20:23], v5 offset1:250
	ds_read_b64 v[30:31], v32 offset:12000
	ds_read2_b64 v[12:15], v32 offset1:250
                                        ; implicit-def: $vgpr7
                                        ; implicit-def: $vgpr11
	s_and_saveexec_b64 s[4:5], vcc
	s_cbranch_execz .LBB0_19
; %bb.18:
	v_add_u32_e32 v0, 0x560, v32
	ds_read2_b64 v[0:3], v0 offset0:3 offset1:253
	ds_read2_b32 v[28:29], v4 offset0:70 offset1:71
	v_add_u32_e32 v4, 0x1cc0, v32
	v_add_u32_e32 v8, 0x2c80, v32
	ds_read2_b64 v[4:7], v4 offset0:5 offset1:255
	ds_read2_b64 v[8:11], v8 offset0:1 offset1:251
.LBB0_19:
	s_or_b64 exec, exec, s[4:5]
	v_mov_b32_e32 v34, 41
	v_mul_lo_u16_sdwa v35, v24, v34 dst_sel:DWORD dst_unused:UNUSED_PAD src0_sel:BYTE_0 src1_sel:DWORD
	v_lshrrev_b16_e32 v47, 11, v35
	v_mul_lo_u16_e32 v35, 50, v47
	v_sub_u16_e32 v48, v24, v35
	v_mov_b32_e32 v35, 6
	v_mul_u32_u24_sdwa v35, v48, v35 dst_sel:DWORD dst_unused:UNUSED_PAD src0_sel:BYTE_0 src1_sel:DWORD
	v_lshlrev_b32_e32 v49, 3, v35
	global_load_dwordx4 v[35:38], v49, s[8:9] offset:384
	global_load_dwordx4 v[39:42], v49, s[8:9] offset:400
	;; [unrolled: 1-line block ×3, first 2 shown]
	s_mov_b32 s7, 0x3f3bfb3b
	s_mov_b32 s10, 0xbf3bfb3b
	;; [unrolled: 1-line block ×4, first 2 shown]
	v_lshlrev_b32_sdwa v33, v33, v48 dst_sel:DWORD dst_unused:UNUSED_PAD src0_sel:DWORD src1_sel:BYTE_0
	s_waitcnt vmcnt(0) lgkmcnt(0)
	s_barrier
	v_mul_f32_e32 v49, v36, v15
	v_mul_f32_e32 v36, v36, v14
	;; [unrolled: 1-line block ×12, first 2 shown]
	v_fmac_f32_e32 v49, v35, v14
	v_fma_f32 v14, v35, v15, -v36
	v_fmac_f32_e32 v50, v37, v16
	v_fma_f32 v15, v37, v17, -v38
	;; [unrolled: 2-line block ×6, first 2 shown]
	v_add_f32_e32 v20, v49, v54
	v_add_f32_e32 v21, v14, v19
	v_sub_f32_e32 v14, v14, v19
	v_add_f32_e32 v19, v50, v53
	v_add_f32_e32 v23, v15, v18
	v_sub_f32_e32 v15, v15, v18
	;; [unrolled: 3-line block ×4, first 2 shown]
	v_sub_f32_e32 v30, v50, v53
	v_sub_f32_e32 v35, v52, v51
	;; [unrolled: 1-line block ×8, first 2 shown]
	v_add_f32_e32 v17, v18, v17
	v_add_f32_e32 v18, v31, v36
	;; [unrolled: 1-line block ×4, first 2 shown]
	v_sub_f32_e32 v41, v35, v30
	v_sub_f32_e32 v42, v16, v15
	;; [unrolled: 1-line block ×3, first 2 shown]
	v_mul_f32_e32 v20, 0x3f4a47b2, v20
	v_mul_f32_e32 v21, 0x3f4a47b2, v21
	;; [unrolled: 1-line block ×4, first 2 shown]
	v_add_f32_e32 v13, v18, v13
	v_sub_f32_e32 v35, v22, v35
	v_sub_f32_e32 v16, v14, v16
	;; [unrolled: 1-line block ×3, first 2 shown]
	v_add_f32_e32 v22, v39, v22
	v_add_f32_e32 v14, v40, v14
	v_mul_f32_e32 v39, 0x3f08b237, v41
	v_mul_f32_e32 v40, 0x3f08b237, v42
	v_mul_f32_e32 v41, 0xbf5ff5aa, v30
	v_add_f32_e32 v12, v17, v12
	v_fma_f32 v31, v37, s7, -v31
	v_fma_f32 v36, v38, s7, -v36
	;; [unrolled: 1-line block ×3, first 2 shown]
	v_fmac_f32_e32 v20, 0x3d64c772, v19
	v_fma_f32 v19, v38, s10, -v21
	v_mov_b32_e32 v38, v13
	v_mul_f32_e32 v42, 0xbf5ff5aa, v15
	v_fmac_f32_e32 v21, 0x3d64c772, v23
	v_fma_f32 v23, v30, s6, -v39
	v_fmac_f32_e32 v39, 0xbeae86e6, v35
	v_fma_f32 v30, v15, s6, -v40
	v_mov_b32_e32 v15, v12
	v_fmac_f32_e32 v38, 0xbf955555, v18
	v_fma_f32 v35, v35, s11, -v41
	v_fmac_f32_e32 v40, 0xbeae86e6, v16
	v_fmac_f32_e32 v15, 0xbf955555, v17
	v_add_f32_e32 v43, v21, v38
	v_add_f32_e32 v21, v36, v38
	;; [unrolled: 1-line block ×3, first 2 shown]
	v_fmac_f32_e32 v23, 0xbee1c552, v22
	v_fmac_f32_e32 v35, 0xbee1c552, v22
	v_fma_f32 v41, v16, s11, -v42
	v_add_f32_e32 v42, v20, v15
	v_fmac_f32_e32 v39, 0xbee1c552, v22
	v_fmac_f32_e32 v40, 0xbee1c552, v14
	v_sub_f32_e32 v17, v36, v35
	v_add_f32_e32 v19, v23, v21
	v_sub_f32_e32 v21, v21, v23
	v_add_f32_e32 v23, v35, v36
	v_mul_u32_u24_e32 v35, 0xaf0, v47
	v_add_f32_e32 v20, v31, v15
	v_add_f32_e32 v31, v37, v15
	v_fmac_f32_e32 v30, 0xbee1c552, v14
	v_fmac_f32_e32 v41, 0xbee1c552, v14
	v_add_f32_e32 v14, v40, v42
	v_sub_f32_e32 v15, v43, v39
	v_add3_u32 v33, 0, v35, v33
	v_add_f32_e32 v16, v41, v31
	v_sub_f32_e32 v18, v20, v30
	v_add_f32_e32 v20, v30, v20
	v_sub_f32_e32 v22, v31, v41
	v_sub_f32_e32 v30, v42, v40
	v_add_f32_e32 v31, v39, v43
	ds_write2_b64 v33, v[12:13], v[14:15] offset1:50
	ds_write2_b64 v33, v[16:17], v[18:19] offset0:100 offset1:150
	ds_write2_b64 v33, v[20:21], v[22:23] offset0:200 offset1:250
	ds_write_b64 v33, v[30:31] offset:2400
	s_and_saveexec_b64 s[4:5], vcc
	s_cbranch_execz .LBB0_21
; %bb.20:
	v_lshrrev_b16_e32 v12, 1, v25
	v_mul_u32_u24_e32 v12, 0x147b, v12
	v_lshrrev_b32_e32 v12, 17, v12
	v_mul_lo_u16_e32 v12, 50, v12
	v_sub_u16_e32 v30, v25, v12
	v_mul_u32_u24_e32 v12, 6, v30
	v_lshlrev_b32_e32 v31, 3, v12
	global_load_dwordx4 v[12:15], v31, s[8:9] offset:384
	global_load_dwordx4 v[16:19], v31, s[8:9] offset:416
	;; [unrolled: 1-line block ×3, first 2 shown]
	s_waitcnt vmcnt(2)
	v_mul_f32_e32 v31, v3, v13
	s_waitcnt vmcnt(1)
	v_mul_f32_e32 v33, v11, v19
	;; [unrolled: 2-line block ×3, first 2 shown]
	v_mul_f32_e32 v36, v5, v21
	v_mul_f32_e32 v37, v29, v15
	;; [unrolled: 1-line block ×9, first 2 shown]
	v_fmac_f32_e32 v31, v2, v12
	v_fmac_f32_e32 v33, v10, v18
	;; [unrolled: 1-line block ×6, first 2 shown]
	v_fma_f32 v2, v11, v18, -v19
	v_fma_f32 v3, v3, v12, -v13
	;; [unrolled: 1-line block ×6, first 2 shown]
	v_sub_f32_e32 v9, v35, v36
	v_sub_f32_e32 v10, v37, v38
	v_add_f32_e32 v11, v3, v2
	v_add_f32_e32 v12, v4, v5
	;; [unrolled: 1-line block ×6, first 2 shown]
	v_sub_f32_e32 v8, v31, v33
	v_sub_f32_e32 v17, v3, v2
	;; [unrolled: 1-line block ×5, first 2 shown]
	v_add_f32_e32 v6, v9, v10
	v_sub_f32_e32 v7, v11, v12
	v_add_f32_e32 v18, v13, v11
	v_sub_f32_e32 v19, v14, v15
	;; [unrolled: 2-line block ×3, first 2 shown]
	v_sub_f32_e32 v9, v12, v13
	v_sub_f32_e32 v20, v15, v16
	;; [unrolled: 1-line block ×6, first 2 shown]
	v_mul_f32_e32 v14, 0x3f08b237, v5
	v_add_f32_e32 v6, v6, v8
	v_mul_f32_e32 v5, 0x3f4a47b2, v7
	v_add_f32_e32 v8, v12, v18
	;; [unrolled: 2-line block ×3, first 2 shown]
	v_mul_f32_e32 v18, 0x3f08b237, v23
	v_mov_b32_e32 v23, v5
	v_add_f32_e32 v1, v1, v8
	v_mov_b32_e32 v28, v12
	v_add_f32_e32 v0, v0, v15
	v_mul_f32_e32 v7, 0x3d64c772, v9
	v_mul_f32_e32 v16, 0x3d64c772, v20
	v_fmac_f32_e32 v23, 0x3d64c772, v9
	v_mov_b32_e32 v9, v1
	v_fmac_f32_e32 v28, 0x3d64c772, v20
	v_mov_b32_e32 v20, v0
	v_fmac_f32_e32 v9, 0xbf955555, v8
	v_fmac_f32_e32 v20, 0xbf955555, v15
	v_fma_f32 v8, v13, s10, -v12
	v_sub_f32_e32 v22, v17, v2
	v_add_f32_e32 v2, v2, v4
	v_mov_b32_e32 v21, v14
	v_add_f32_e32 v12, v8, v20
	v_sub_f32_e32 v8, v4, v17
	v_add_f32_e32 v19, v2, v17
	v_mul_f32_e32 v2, 0xbf5ff5aa, v10
	v_mov_b32_e32 v29, v18
	v_fmac_f32_e32 v21, 0xbeae86e6, v3
	v_mul_f32_e32 v4, 0xbf5ff5aa, v8
	v_fma_f32 v10, v10, s6, -v14
	v_mul_lo_u16_sdwa v14, v25, v34 dst_sel:DWORD dst_unused:UNUSED_PAD src0_sel:BYTE_0 src1_sel:DWORD
	v_fma_f32 v31, v3, s11, -v2
	v_fma_f32 v2, v11, s10, -v5
	v_fmac_f32_e32 v29, 0xbeae86e6, v22
	v_fmac_f32_e32 v21, 0xbee1c552, v6
	v_add_f32_e32 v15, v23, v9
	v_fma_f32 v17, v22, s11, -v4
	v_fma_f32 v7, v11, s7, -v7
	v_lshrrev_b16_e32 v14, 11, v14
	v_fmac_f32_e32 v31, 0xbee1c552, v6
	v_fmac_f32_e32 v29, 0xbee1c552, v19
	v_add_f32_e32 v23, v28, v20
	v_add_f32_e32 v28, v2, v9
	;; [unrolled: 1-line block ×3, first 2 shown]
	v_fmac_f32_e32 v17, 0xbee1c552, v19
	v_add_f32_e32 v9, v7, v9
	v_fmac_f32_e32 v10, 0xbee1c552, v6
	v_fma_f32 v8, v8, s6, -v18
	v_fma_f32 v6, v13, s7, -v16
	v_sub_f32_e32 v13, v15, v21
	v_mul_u32_u24_e32 v14, 0xaf0, v14
	v_lshlrev_b32_e32 v15, 3, v30
	v_sub_f32_e32 v4, v12, v17
	v_sub_f32_e32 v7, v9, v10
	v_fmac_f32_e32 v8, 0xbee1c552, v19
	v_add_f32_e32 v11, v6, v20
	v_add_f32_e32 v9, v10, v9
	;; [unrolled: 1-line block ×4, first 2 shown]
	v_add3_u32 v14, 0, v14, v15
	v_sub_f32_e32 v2, v23, v29
	v_add_f32_e32 v5, v31, v28
	v_add_f32_e32 v6, v8, v11
	v_sub_f32_e32 v8, v11, v8
	v_sub_f32_e32 v11, v28, v31
	ds_write2_b64 v14, v[0:1], v[12:13] offset1:50
	ds_write2_b64 v14, v[10:11], v[8:9] offset0:100 offset1:150
	ds_write2_b64 v14, v[6:7], v[4:5] offset0:200 offset1:250
	ds_write_b64 v14, v[2:3] offset:2400
.LBB0_21:
	s_or_b64 exec, exec, s[4:5]
	v_lshlrev_b32_e32 v0, 2, v24
	v_mov_b32_e32 v1, 0
	v_lshlrev_b64 v[2:3], 3, v[0:1]
	v_mov_b32_e32 v12, s9
	v_add_co_u32_e32 v10, vcc, s8, v2
	v_addc_co_u32_e32 v11, vcc, v12, v3, vcc
	v_lshlrev_b32_e32 v0, 2, v25
	s_waitcnt lgkmcnt(0)
	s_barrier
	global_load_dwordx4 v[2:5], v[10:11], off offset:2784
	global_load_dwordx4 v[6:9], v[10:11], off offset:2800
	v_lshlrev_b64 v[10:11], 3, v[0:1]
	v_add_u32_e32 v0, 0xa00, v32
	v_add_co_u32_e32 v18, vcc, s8, v10
	v_addc_co_u32_e32 v19, vcc, v12, v11, vcc
	global_load_dwordx4 v[10:13], v[18:19], off offset:2784
	global_load_dwordx4 v[14:17], v[18:19], off offset:2800
	v_add_u32_e32 v22, 0x1400, v32
	ds_read2_b64 v[28:31], v0 offset0:30 offset1:205
	ds_read2_b64 v[18:21], v32 offset1:175
	v_add_u32_e32 v23, 0x2000, v32
	v_add_u32_e32 v25, 0x2a00, v32
	ds_read2_b64 v[33:36], v22 offset0:60 offset1:235
	ds_read2_b64 v[37:40], v23 offset0:26 offset1:201
	;; [unrolled: 1-line block ×3, first 2 shown]
	s_waitcnt vmcnt(0) lgkmcnt(0)
	s_barrier
	v_mul_f32_e32 v45, v3, v29
	v_mul_f32_e32 v3, v3, v28
	;; [unrolled: 1-line block ×7, first 2 shown]
	v_fmac_f32_e32 v45, v2, v28
	v_fma_f32 v28, v2, v29, -v3
	v_fmac_f32_e32 v46, v4, v33
	v_fmac_f32_e32 v47, v6, v37
	v_mul_f32_e32 v37, v11, v31
	v_mul_f32_e32 v2, v11, v30
	;; [unrolled: 1-line block ×4, first 2 shown]
	v_fma_f32 v29, v4, v34, -v5
	v_fma_f32 v33, v6, v38, -v7
	v_fmac_f32_e32 v48, v8, v41
	v_mul_f32_e32 v38, v36, v13
	v_mul_f32_e32 v4, v39, v15
	v_fmac_f32_e32 v37, v10, v30
	v_fma_f32 v30, v10, v31, -v2
	v_fma_f32 v31, v36, v12, -v3
	v_add_f32_e32 v2, v18, v45
	v_add_f32_e32 v3, v46, v47
	v_fma_f32 v34, v8, v42, -v9
	v_mul_f32_e32 v5, v43, v17
	v_fmac_f32_e32 v38, v35, v12
	v_fma_f32 v35, v40, v14, -v4
	v_sub_f32_e32 v4, v45, v46
	v_sub_f32_e32 v6, v48, v47
	v_add_f32_e32 v11, v2, v46
	v_fma_f32 v2, -0.5, v3, v18
	v_fma_f32 v36, v44, v16, -v5
	v_sub_f32_e32 v5, v28, v34
	v_add_f32_e32 v3, v4, v6
	v_mov_b32_e32 v6, v2
	v_sub_f32_e32 v7, v29, v33
	v_fmac_f32_e32 v2, 0x3f737871, v5
	v_fmac_f32_e32 v6, 0xbf737871, v5
	;; [unrolled: 1-line block ×6, first 2 shown]
	v_add_f32_e32 v3, v19, v28
	v_add_f32_e32 v8, v45, v48
	;; [unrolled: 1-line block ×3, first 2 shown]
	v_sub_f32_e32 v9, v46, v45
	v_sub_f32_e32 v10, v47, v48
	v_fma_f32 v4, -0.5, v8, v18
	v_add_f32_e32 v3, v3, v33
	v_add_f32_e32 v9, v9, v10
	;; [unrolled: 1-line block ×3, first 2 shown]
	v_mov_b32_e32 v8, v4
	v_add_f32_e32 v11, v3, v34
	v_add_f32_e32 v3, v29, v33
	v_fmac_f32_e32 v4, 0xbf737871, v7
	v_fmac_f32_e32 v8, 0x3f737871, v7
	v_fma_f32 v3, -0.5, v3, v19
	v_fmac_f32_e32 v4, 0x3f167918, v5
	v_fmac_f32_e32 v8, 0xbf167918, v5
	v_sub_f32_e32 v12, v45, v48
	v_mov_b32_e32 v7, v3
	v_fmac_f32_e32 v4, 0x3e9e377a, v9
	v_fmac_f32_e32 v8, 0x3e9e377a, v9
	;; [unrolled: 1-line block ×3, first 2 shown]
	v_sub_f32_e32 v13, v46, v47
	v_sub_f32_e32 v5, v28, v29
	;; [unrolled: 1-line block ×3, first 2 shown]
	v_fmac_f32_e32 v3, 0xbf737871, v12
	v_fmac_f32_e32 v7, 0x3f167918, v13
	v_add_f32_e32 v5, v5, v9
	v_fmac_f32_e32 v3, 0xbf167918, v13
	v_fmac_f32_e32 v7, 0x3e9e377a, v5
	v_fmac_f32_e32 v3, 0x3e9e377a, v5
	v_add_f32_e32 v5, v28, v34
	v_fma_f32 v5, -0.5, v5, v19
	v_mul_f32_e32 v41, v40, v15
	v_mov_b32_e32 v9, v5
	v_fmac_f32_e32 v41, v39, v14
	v_fmac_f32_e32 v9, 0xbf737871, v13
	v_sub_f32_e32 v14, v29, v28
	v_sub_f32_e32 v15, v33, v34
	v_fmac_f32_e32 v5, 0x3f737871, v13
	v_fmac_f32_e32 v9, 0x3f167918, v12
	v_add_f32_e32 v14, v14, v15
	v_fmac_f32_e32 v5, 0xbf167918, v12
	v_add_f32_e32 v13, v38, v41
	v_mul_f32_e32 v42, v44, v17
	v_fmac_f32_e32 v9, 0x3e9e377a, v14
	v_fmac_f32_e32 v5, 0x3e9e377a, v14
	v_fma_f32 v14, -0.5, v13, v20
	v_fmac_f32_e32 v42, v43, v16
	v_sub_f32_e32 v13, v30, v36
	v_mov_b32_e32 v16, v14
	v_fmac_f32_e32 v16, 0xbf737871, v13
	v_sub_f32_e32 v15, v31, v35
	v_sub_f32_e32 v17, v37, v38
	v_sub_f32_e32 v18, v42, v41
	v_fmac_f32_e32 v14, 0x3f737871, v13
	v_fmac_f32_e32 v16, 0xbf167918, v15
	v_add_f32_e32 v17, v17, v18
	v_fmac_f32_e32 v14, 0x3f167918, v15
	v_fmac_f32_e32 v16, 0x3e9e377a, v17
	;; [unrolled: 1-line block ×3, first 2 shown]
	v_add_f32_e32 v17, v37, v42
	v_add_f32_e32 v12, v20, v37
	v_fma_f32 v20, -0.5, v17, v20
	v_mov_b32_e32 v18, v20
	v_fmac_f32_e32 v18, 0x3f737871, v15
	v_sub_f32_e32 v17, v38, v37
	v_sub_f32_e32 v19, v41, v42
	v_fmac_f32_e32 v20, 0xbf737871, v15
	v_add_f32_e32 v15, v31, v35
	v_fmac_f32_e32 v18, 0xbf167918, v13
	v_add_f32_e32 v17, v17, v19
	v_fmac_f32_e32 v20, 0x3f167918, v13
	v_fma_f32 v15, -0.5, v15, v21
	v_fmac_f32_e32 v18, 0x3e9e377a, v17
	v_fmac_f32_e32 v20, 0x3e9e377a, v17
	v_sub_f32_e32 v28, v37, v42
	v_mov_b32_e32 v17, v15
	v_fmac_f32_e32 v17, 0x3f737871, v28
	v_sub_f32_e32 v29, v38, v41
	v_sub_f32_e32 v19, v30, v31
	;; [unrolled: 1-line block ×3, first 2 shown]
	v_fmac_f32_e32 v15, 0xbf737871, v28
	v_fmac_f32_e32 v17, 0x3f167918, v29
	v_add_f32_e32 v19, v19, v33
	v_fmac_f32_e32 v15, 0xbf167918, v29
	v_fmac_f32_e32 v17, 0x3e9e377a, v19
	;; [unrolled: 1-line block ×3, first 2 shown]
	v_add_f32_e32 v19, v30, v36
	v_add_f32_e32 v13, v21, v30
	v_fmac_f32_e32 v21, -0.5, v19
	v_add_f32_e32 v12, v12, v38
	v_add_f32_e32 v13, v13, v31
	v_mov_b32_e32 v19, v21
	v_add_f32_e32 v12, v12, v41
	v_add_f32_e32 v13, v13, v35
	v_fmac_f32_e32 v19, 0xbf737871, v29
	v_sub_f32_e32 v30, v31, v30
	v_sub_f32_e32 v31, v35, v36
	v_fmac_f32_e32 v21, 0x3f737871, v29
	v_add_f32_e32 v10, v10, v48
	v_add_f32_e32 v12, v12, v42
	;; [unrolled: 1-line block ×3, first 2 shown]
	v_fmac_f32_e32 v19, 0x3f167918, v28
	v_add_f32_e32 v30, v30, v31
	v_fmac_f32_e32 v21, 0xbf167918, v28
	v_fmac_f32_e32 v19, 0x3e9e377a, v30
	;; [unrolled: 1-line block ×3, first 2 shown]
	ds_write2_b64 v32, v[10:11], v[12:13] offset1:175
	ds_write2_b64 v0, v[6:7], v[16:17] offset0:30 offset1:205
	ds_write2_b64 v22, v[8:9], v[18:19] offset0:60 offset1:235
	;; [unrolled: 1-line block ×4, first 2 shown]
	s_waitcnt lgkmcnt(0)
	s_barrier
	s_and_saveexec_b64 s[4:5], s[0:1]
	s_cbranch_execz .LBB0_23
; %bb.22:
	v_lshl_add_u32 v8, v24, 3, 0
	v_mov_b32_e32 v25, v1
	ds_read2_b64 v[2:5], v8 offset1:175
	v_mov_b32_e32 v0, s3
	v_add_co_u32_e32 v9, vcc, s2, v26
	v_lshlrev_b64 v[6:7], 3, v[24:25]
	v_addc_co_u32_e32 v10, vcc, v0, v27, vcc
	v_add_co_u32_e32 v6, vcc, v9, v6
	v_addc_co_u32_e32 v7, vcc, v10, v7, vcc
	v_add_u32_e32 v0, 0xaf, v24
	s_waitcnt lgkmcnt(0)
	global_store_dwordx2 v[6:7], v[2:3], off
	v_lshlrev_b64 v[2:3], 3, v[0:1]
	v_add_u32_e32 v0, 0x15e, v24
	v_add_co_u32_e32 v2, vcc, v9, v2
	v_addc_co_u32_e32 v3, vcc, v10, v3, vcc
	global_store_dwordx2 v[2:3], v[4:5], off
	v_add_u32_e32 v2, 0xa00, v8
	ds_read2_b64 v[2:5], v2 offset0:30 offset1:205
	v_lshlrev_b64 v[6:7], 3, v[0:1]
	v_add_u32_e32 v0, 0x20d, v24
	v_add_co_u32_e32 v6, vcc, v9, v6
	v_addc_co_u32_e32 v7, vcc, v10, v7, vcc
	s_waitcnt lgkmcnt(0)
	global_store_dwordx2 v[6:7], v[2:3], off
	v_lshlrev_b64 v[2:3], 3, v[0:1]
	v_add_u32_e32 v0, 0x2bc, v24
	v_add_co_u32_e32 v2, vcc, v9, v2
	v_addc_co_u32_e32 v3, vcc, v10, v3, vcc
	global_store_dwordx2 v[2:3], v[4:5], off
	v_add_u32_e32 v2, 0x1400, v8
	ds_read2_b64 v[2:5], v2 offset0:60 offset1:235
	v_lshlrev_b64 v[6:7], 3, v[0:1]
	v_add_u32_e32 v0, 0x36b, v24
	v_add_co_u32_e32 v6, vcc, v9, v6
	v_addc_co_u32_e32 v7, vcc, v10, v7, vcc
	;; [unrolled: 13-line block ×3, first 2 shown]
	s_waitcnt lgkmcnt(0)
	global_store_dwordx2 v[6:7], v[2:3], off
	v_lshlrev_b64 v[2:3], 3, v[0:1]
	v_add_u32_e32 v0, 0x578, v24
	v_add_co_u32_e32 v2, vcc, v9, v2
	v_addc_co_u32_e32 v3, vcc, v10, v3, vcc
	global_store_dwordx2 v[2:3], v[4:5], off
	v_add_u32_e32 v2, 0x2a00, v8
	v_lshlrev_b64 v[6:7], 3, v[0:1]
	ds_read2_b64 v[2:5], v2 offset0:56 offset1:231
	v_add_u32_e32 v0, 0x627, v24
	v_add_co_u32_e32 v6, vcc, v9, v6
	v_lshlrev_b64 v[0:1], 3, v[0:1]
	v_addc_co_u32_e32 v7, vcc, v10, v7, vcc
	v_add_co_u32_e32 v0, vcc, v9, v0
	v_addc_co_u32_e32 v1, vcc, v10, v1, vcc
	s_waitcnt lgkmcnt(0)
	global_store_dwordx2 v[6:7], v[2:3], off
	global_store_dwordx2 v[0:1], v[4:5], off
.LBB0_23:
	s_endpgm
	.section	.rodata,"a",@progbits
	.p2align	6, 0x0
	.amdhsa_kernel fft_rtc_back_len1750_factors_2_5_5_7_5_wgs_175_tpt_175_halfLds_sp_ip_CI_unitstride_sbrr_C2R_dirReg
		.amdhsa_group_segment_fixed_size 0
		.amdhsa_private_segment_fixed_size 0
		.amdhsa_kernarg_size 88
		.amdhsa_user_sgpr_count 6
		.amdhsa_user_sgpr_private_segment_buffer 1
		.amdhsa_user_sgpr_dispatch_ptr 0
		.amdhsa_user_sgpr_queue_ptr 0
		.amdhsa_user_sgpr_kernarg_segment_ptr 1
		.amdhsa_user_sgpr_dispatch_id 0
		.amdhsa_user_sgpr_flat_scratch_init 0
		.amdhsa_user_sgpr_private_segment_size 0
		.amdhsa_uses_dynamic_stack 0
		.amdhsa_system_sgpr_private_segment_wavefront_offset 0
		.amdhsa_system_sgpr_workgroup_id_x 1
		.amdhsa_system_sgpr_workgroup_id_y 0
		.amdhsa_system_sgpr_workgroup_id_z 0
		.amdhsa_system_sgpr_workgroup_info 0
		.amdhsa_system_vgpr_workitem_id 0
		.amdhsa_next_free_vgpr 55
		.amdhsa_next_free_sgpr 22
		.amdhsa_reserve_vcc 1
		.amdhsa_reserve_flat_scratch 0
		.amdhsa_float_round_mode_32 0
		.amdhsa_float_round_mode_16_64 0
		.amdhsa_float_denorm_mode_32 3
		.amdhsa_float_denorm_mode_16_64 3
		.amdhsa_dx10_clamp 1
		.amdhsa_ieee_mode 1
		.amdhsa_fp16_overflow 0
		.amdhsa_exception_fp_ieee_invalid_op 0
		.amdhsa_exception_fp_denorm_src 0
		.amdhsa_exception_fp_ieee_div_zero 0
		.amdhsa_exception_fp_ieee_overflow 0
		.amdhsa_exception_fp_ieee_underflow 0
		.amdhsa_exception_fp_ieee_inexact 0
		.amdhsa_exception_int_div_zero 0
	.end_amdhsa_kernel
	.text
.Lfunc_end0:
	.size	fft_rtc_back_len1750_factors_2_5_5_7_5_wgs_175_tpt_175_halfLds_sp_ip_CI_unitstride_sbrr_C2R_dirReg, .Lfunc_end0-fft_rtc_back_len1750_factors_2_5_5_7_5_wgs_175_tpt_175_halfLds_sp_ip_CI_unitstride_sbrr_C2R_dirReg
                                        ; -- End function
	.section	.AMDGPU.csdata,"",@progbits
; Kernel info:
; codeLenInByte = 7788
; NumSgprs: 26
; NumVgprs: 55
; ScratchSize: 0
; MemoryBound: 0
; FloatMode: 240
; IeeeMode: 1
; LDSByteSize: 0 bytes/workgroup (compile time only)
; SGPRBlocks: 3
; VGPRBlocks: 13
; NumSGPRsForWavesPerEU: 26
; NumVGPRsForWavesPerEU: 55
; Occupancy: 4
; WaveLimiterHint : 1
; COMPUTE_PGM_RSRC2:SCRATCH_EN: 0
; COMPUTE_PGM_RSRC2:USER_SGPR: 6
; COMPUTE_PGM_RSRC2:TRAP_HANDLER: 0
; COMPUTE_PGM_RSRC2:TGID_X_EN: 1
; COMPUTE_PGM_RSRC2:TGID_Y_EN: 0
; COMPUTE_PGM_RSRC2:TGID_Z_EN: 0
; COMPUTE_PGM_RSRC2:TIDIG_COMP_CNT: 0
	.type	__hip_cuid_ba242181d1a4e473,@object ; @__hip_cuid_ba242181d1a4e473
	.section	.bss,"aw",@nobits
	.globl	__hip_cuid_ba242181d1a4e473
__hip_cuid_ba242181d1a4e473:
	.byte	0                               ; 0x0
	.size	__hip_cuid_ba242181d1a4e473, 1

	.ident	"AMD clang version 19.0.0git (https://github.com/RadeonOpenCompute/llvm-project roc-6.4.0 25133 c7fe45cf4b819c5991fe208aaa96edf142730f1d)"
	.section	".note.GNU-stack","",@progbits
	.addrsig
	.addrsig_sym __hip_cuid_ba242181d1a4e473
	.amdgpu_metadata
---
amdhsa.kernels:
  - .args:
      - .actual_access:  read_only
        .address_space:  global
        .offset:         0
        .size:           8
        .value_kind:     global_buffer
      - .offset:         8
        .size:           8
        .value_kind:     by_value
      - .actual_access:  read_only
        .address_space:  global
        .offset:         16
        .size:           8
        .value_kind:     global_buffer
      - .actual_access:  read_only
        .address_space:  global
        .offset:         24
        .size:           8
        .value_kind:     global_buffer
      - .offset:         32
        .size:           8
        .value_kind:     by_value
      - .actual_access:  read_only
        .address_space:  global
        .offset:         40
        .size:           8
        .value_kind:     global_buffer
      - .actual_access:  read_only
        .address_space:  global
        .offset:         48
        .size:           8
        .value_kind:     global_buffer
      - .offset:         56
        .size:           4
        .value_kind:     by_value
      - .actual_access:  read_only
        .address_space:  global
        .offset:         64
        .size:           8
        .value_kind:     global_buffer
      - .actual_access:  read_only
        .address_space:  global
        .offset:         72
        .size:           8
        .value_kind:     global_buffer
      - .address_space:  global
        .offset:         80
        .size:           8
        .value_kind:     global_buffer
    .group_segment_fixed_size: 0
    .kernarg_segment_align: 8
    .kernarg_segment_size: 88
    .language:       OpenCL C
    .language_version:
      - 2
      - 0
    .max_flat_workgroup_size: 175
    .name:           fft_rtc_back_len1750_factors_2_5_5_7_5_wgs_175_tpt_175_halfLds_sp_ip_CI_unitstride_sbrr_C2R_dirReg
    .private_segment_fixed_size: 0
    .sgpr_count:     26
    .sgpr_spill_count: 0
    .symbol:         fft_rtc_back_len1750_factors_2_5_5_7_5_wgs_175_tpt_175_halfLds_sp_ip_CI_unitstride_sbrr_C2R_dirReg.kd
    .uniform_work_group_size: 1
    .uses_dynamic_stack: false
    .vgpr_count:     55
    .vgpr_spill_count: 0
    .wavefront_size: 64
amdhsa.target:   amdgcn-amd-amdhsa--gfx906
amdhsa.version:
  - 1
  - 2
...

	.end_amdgpu_metadata
